;; amdgpu-corpus repo=ROCm/rocFFT kind=compiled arch=gfx1030 opt=O3
	.text
	.amdgcn_target "amdgcn-amd-amdhsa--gfx1030"
	.amdhsa_code_object_version 6
	.protected	fft_rtc_back_len616_factors_11_7_8_wgs_88_tpt_88_half_ip_CI_unitstride_sbrr_dirReg ; -- Begin function fft_rtc_back_len616_factors_11_7_8_wgs_88_tpt_88_half_ip_CI_unitstride_sbrr_dirReg
	.globl	fft_rtc_back_len616_factors_11_7_8_wgs_88_tpt_88_half_ip_CI_unitstride_sbrr_dirReg
	.p2align	8
	.type	fft_rtc_back_len616_factors_11_7_8_wgs_88_tpt_88_half_ip_CI_unitstride_sbrr_dirReg,@function
fft_rtc_back_len616_factors_11_7_8_wgs_88_tpt_88_half_ip_CI_unitstride_sbrr_dirReg: ; @fft_rtc_back_len616_factors_11_7_8_wgs_88_tpt_88_half_ip_CI_unitstride_sbrr_dirReg
; %bb.0:
	s_clause 0x2
	s_load_dwordx4 s[8:11], s[4:5], 0x0
	s_load_dwordx2 s[2:3], s[4:5], 0x50
	s_load_dwordx2 s[12:13], s[4:5], 0x18
	v_mul_u32_u24_e32 v1, 0x2e9, v0
	v_mov_b32_e32 v3, 0
	v_add_nc_u32_sdwa v5, s6, v1 dst_sel:DWORD dst_unused:UNUSED_PAD src0_sel:DWORD src1_sel:WORD_1
	v_mov_b32_e32 v1, 0
	v_mov_b32_e32 v6, v3
	v_mov_b32_e32 v2, 0
	s_waitcnt lgkmcnt(0)
	v_cmp_lt_u64_e64 s0, s[10:11], 2
	s_and_b32 vcc_lo, exec_lo, s0
	s_cbranch_vccnz .LBB0_8
; %bb.1:
	s_load_dwordx2 s[0:1], s[4:5], 0x10
	v_mov_b32_e32 v1, 0
	s_add_u32 s6, s12, 8
	v_mov_b32_e32 v2, 0
	s_addc_u32 s7, s13, 0
	s_mov_b64 s[16:17], 1
	s_waitcnt lgkmcnt(0)
	s_add_u32 s14, s0, 8
	s_addc_u32 s15, s1, 0
.LBB0_2:                                ; =>This Inner Loop Header: Depth=1
	s_load_dwordx2 s[18:19], s[14:15], 0x0
                                        ; implicit-def: $vgpr7_vgpr8
	s_mov_b32 s0, exec_lo
	s_waitcnt lgkmcnt(0)
	v_or_b32_e32 v4, s19, v6
	v_cmpx_ne_u64_e32 0, v[3:4]
	s_xor_b32 s1, exec_lo, s0
	s_cbranch_execz .LBB0_4
; %bb.3:                                ;   in Loop: Header=BB0_2 Depth=1
	v_cvt_f32_u32_e32 v4, s18
	v_cvt_f32_u32_e32 v7, s19
	s_sub_u32 s0, 0, s18
	s_subb_u32 s20, 0, s19
	v_fmac_f32_e32 v4, 0x4f800000, v7
	v_rcp_f32_e32 v4, v4
	v_mul_f32_e32 v4, 0x5f7ffffc, v4
	v_mul_f32_e32 v7, 0x2f800000, v4
	v_trunc_f32_e32 v7, v7
	v_fmac_f32_e32 v4, 0xcf800000, v7
	v_cvt_u32_f32_e32 v7, v7
	v_cvt_u32_f32_e32 v4, v4
	v_mul_lo_u32 v8, s0, v7
	v_mul_hi_u32 v9, s0, v4
	v_mul_lo_u32 v10, s20, v4
	v_add_nc_u32_e32 v8, v9, v8
	v_mul_lo_u32 v9, s0, v4
	v_add_nc_u32_e32 v8, v8, v10
	v_mul_hi_u32 v10, v4, v9
	v_mul_lo_u32 v11, v4, v8
	v_mul_hi_u32 v12, v4, v8
	v_mul_hi_u32 v13, v7, v9
	v_mul_lo_u32 v9, v7, v9
	v_mul_hi_u32 v14, v7, v8
	v_mul_lo_u32 v8, v7, v8
	v_add_co_u32 v10, vcc_lo, v10, v11
	v_add_co_ci_u32_e32 v11, vcc_lo, 0, v12, vcc_lo
	v_add_co_u32 v9, vcc_lo, v10, v9
	v_add_co_ci_u32_e32 v9, vcc_lo, v11, v13, vcc_lo
	v_add_co_ci_u32_e32 v10, vcc_lo, 0, v14, vcc_lo
	v_add_co_u32 v8, vcc_lo, v9, v8
	v_add_co_ci_u32_e32 v9, vcc_lo, 0, v10, vcc_lo
	v_add_co_u32 v4, vcc_lo, v4, v8
	v_add_co_ci_u32_e32 v7, vcc_lo, v7, v9, vcc_lo
	v_mul_hi_u32 v8, s0, v4
	v_mul_lo_u32 v10, s20, v4
	v_mul_lo_u32 v9, s0, v7
	v_add_nc_u32_e32 v8, v8, v9
	v_mul_lo_u32 v9, s0, v4
	v_add_nc_u32_e32 v8, v8, v10
	v_mul_hi_u32 v10, v4, v9
	v_mul_lo_u32 v11, v4, v8
	v_mul_hi_u32 v12, v4, v8
	v_mul_hi_u32 v13, v7, v9
	v_mul_lo_u32 v9, v7, v9
	v_mul_hi_u32 v14, v7, v8
	v_mul_lo_u32 v8, v7, v8
	v_add_co_u32 v10, vcc_lo, v10, v11
	v_add_co_ci_u32_e32 v11, vcc_lo, 0, v12, vcc_lo
	v_add_co_u32 v9, vcc_lo, v10, v9
	v_add_co_ci_u32_e32 v9, vcc_lo, v11, v13, vcc_lo
	v_add_co_ci_u32_e32 v10, vcc_lo, 0, v14, vcc_lo
	v_add_co_u32 v8, vcc_lo, v9, v8
	v_add_co_ci_u32_e32 v9, vcc_lo, 0, v10, vcc_lo
	v_add_co_u32 v4, vcc_lo, v4, v8
	v_add_co_ci_u32_e32 v11, vcc_lo, v7, v9, vcc_lo
	v_mul_hi_u32 v13, v5, v4
	v_mad_u64_u32 v[9:10], null, v6, v4, 0
	v_mad_u64_u32 v[7:8], null, v5, v11, 0
	;; [unrolled: 1-line block ×3, first 2 shown]
	v_add_co_u32 v4, vcc_lo, v13, v7
	v_add_co_ci_u32_e32 v7, vcc_lo, 0, v8, vcc_lo
	v_add_co_u32 v4, vcc_lo, v4, v9
	v_add_co_ci_u32_e32 v4, vcc_lo, v7, v10, vcc_lo
	v_add_co_ci_u32_e32 v7, vcc_lo, 0, v12, vcc_lo
	v_add_co_u32 v4, vcc_lo, v4, v11
	v_add_co_ci_u32_e32 v9, vcc_lo, 0, v7, vcc_lo
	v_mul_lo_u32 v10, s19, v4
	v_mad_u64_u32 v[7:8], null, s18, v4, 0
	v_mul_lo_u32 v11, s18, v9
	v_sub_co_u32 v7, vcc_lo, v5, v7
	v_add3_u32 v8, v8, v11, v10
	v_sub_nc_u32_e32 v10, v6, v8
	v_subrev_co_ci_u32_e64 v10, s0, s19, v10, vcc_lo
	v_add_co_u32 v11, s0, v4, 2
	v_add_co_ci_u32_e64 v12, s0, 0, v9, s0
	v_sub_co_u32 v13, s0, v7, s18
	v_sub_co_ci_u32_e32 v8, vcc_lo, v6, v8, vcc_lo
	v_subrev_co_ci_u32_e64 v10, s0, 0, v10, s0
	v_cmp_le_u32_e32 vcc_lo, s18, v13
	v_cmp_eq_u32_e64 s0, s19, v8
	v_cndmask_b32_e64 v13, 0, -1, vcc_lo
	v_cmp_le_u32_e32 vcc_lo, s19, v10
	v_cndmask_b32_e64 v14, 0, -1, vcc_lo
	v_cmp_le_u32_e32 vcc_lo, s18, v7
	;; [unrolled: 2-line block ×3, first 2 shown]
	v_cndmask_b32_e64 v15, 0, -1, vcc_lo
	v_cmp_eq_u32_e32 vcc_lo, s19, v10
	v_cndmask_b32_e64 v7, v15, v7, s0
	v_cndmask_b32_e32 v10, v14, v13, vcc_lo
	v_add_co_u32 v13, vcc_lo, v4, 1
	v_add_co_ci_u32_e32 v14, vcc_lo, 0, v9, vcc_lo
	v_cmp_ne_u32_e32 vcc_lo, 0, v10
	v_cndmask_b32_e32 v8, v14, v12, vcc_lo
	v_cndmask_b32_e32 v10, v13, v11, vcc_lo
	v_cmp_ne_u32_e32 vcc_lo, 0, v7
	v_cndmask_b32_e32 v8, v9, v8, vcc_lo
	v_cndmask_b32_e32 v7, v4, v10, vcc_lo
.LBB0_4:                                ;   in Loop: Header=BB0_2 Depth=1
	s_andn2_saveexec_b32 s0, s1
	s_cbranch_execz .LBB0_6
; %bb.5:                                ;   in Loop: Header=BB0_2 Depth=1
	v_cvt_f32_u32_e32 v4, s18
	s_sub_i32 s1, 0, s18
	v_rcp_iflag_f32_e32 v4, v4
	v_mul_f32_e32 v4, 0x4f7ffffe, v4
	v_cvt_u32_f32_e32 v4, v4
	v_mul_lo_u32 v7, s1, v4
	v_mul_hi_u32 v7, v4, v7
	v_add_nc_u32_e32 v4, v4, v7
	v_mul_hi_u32 v4, v5, v4
	v_mul_lo_u32 v7, v4, s18
	v_add_nc_u32_e32 v8, 1, v4
	v_sub_nc_u32_e32 v7, v5, v7
	v_subrev_nc_u32_e32 v9, s18, v7
	v_cmp_le_u32_e32 vcc_lo, s18, v7
	v_cndmask_b32_e32 v7, v7, v9, vcc_lo
	v_cndmask_b32_e32 v4, v4, v8, vcc_lo
	v_cmp_le_u32_e32 vcc_lo, s18, v7
	v_add_nc_u32_e32 v8, 1, v4
	v_cndmask_b32_e32 v7, v4, v8, vcc_lo
	v_mov_b32_e32 v8, v3
.LBB0_6:                                ;   in Loop: Header=BB0_2 Depth=1
	s_or_b32 exec_lo, exec_lo, s0
	s_load_dwordx2 s[0:1], s[6:7], 0x0
	v_mul_lo_u32 v4, v8, s18
	v_mul_lo_u32 v11, v7, s19
	v_mad_u64_u32 v[9:10], null, v7, s18, 0
	s_add_u32 s16, s16, 1
	s_addc_u32 s17, s17, 0
	s_add_u32 s6, s6, 8
	s_addc_u32 s7, s7, 0
	;; [unrolled: 2-line block ×3, first 2 shown]
	v_add3_u32 v4, v10, v11, v4
	v_sub_co_u32 v5, vcc_lo, v5, v9
	v_sub_co_ci_u32_e32 v4, vcc_lo, v6, v4, vcc_lo
	s_waitcnt lgkmcnt(0)
	v_mul_lo_u32 v6, s1, v5
	v_mul_lo_u32 v4, s0, v4
	v_mad_u64_u32 v[1:2], null, s0, v5, v[1:2]
	v_cmp_ge_u64_e64 s0, s[16:17], s[10:11]
	s_and_b32 vcc_lo, exec_lo, s0
	v_add3_u32 v2, v6, v2, v4
	s_cbranch_vccnz .LBB0_9
; %bb.7:                                ;   in Loop: Header=BB0_2 Depth=1
	v_mov_b32_e32 v5, v7
	v_mov_b32_e32 v6, v8
	s_branch .LBB0_2
.LBB0_8:
	v_mov_b32_e32 v8, v6
	v_mov_b32_e32 v7, v5
.LBB0_9:
	s_lshl_b64 s[0:1], s[10:11], 3
	v_mul_hi_u32 v3, 0x2e8ba2f, v0
	s_add_u32 s0, s12, s0
	s_addc_u32 s1, s13, s1
                                        ; implicit-def: $vgpr10
                                        ; implicit-def: $vgpr9
                                        ; implicit-def: $vgpr11
                                        ; implicit-def: $vgpr15
                                        ; implicit-def: $vgpr14
                                        ; implicit-def: $vgpr6
                                        ; implicit-def: $vgpr13
	s_load_dwordx2 s[0:1], s[0:1], 0x0
	s_load_dwordx2 s[4:5], s[4:5], 0x20
	v_mul_u32_u24_e32 v3, 0x58, v3
	v_sub_nc_u32_e32 v0, v0, v3
	s_waitcnt lgkmcnt(0)
	v_mul_lo_u32 v4, s0, v8
	v_mul_lo_u32 v5, s1, v7
	v_mad_u64_u32 v[1:2], null, s0, v7, v[1:2]
	v_cmp_gt_u64_e32 vcc_lo, s[4:5], v[7:8]
	v_cmp_gt_u32_e64 s0, 56, v0
                                        ; implicit-def: $vgpr7
                                        ; implicit-def: $vgpr8
	s_and_b32 s1, vcc_lo, s0
	v_add3_u32 v2, v5, v2, v4
                                        ; implicit-def: $vgpr4
	v_lshlrev_b64 v[2:3], 2, v[1:2]
	v_mov_b32_e32 v1, 0
	s_and_saveexec_b32 s4, s1
; %bb.10:
	v_mov_b32_e32 v1, 0
	v_lshlrev_b64 v[4:5], 2, v[0:1]
	v_add_co_u32 v1, s1, s2, v2
	v_add_co_ci_u32_e64 v6, s1, s3, v3, s1
	v_add_co_u32 v4, s1, v1, v4
	v_add_co_ci_u32_e64 v5, s1, v6, v5, s1
	;; [unrolled: 2-line block ×3, first 2 shown]
	s_clause 0xa
	global_load_dword v1, v[4:5], off
	global_load_dword v15, v[4:5], off offset:224
	global_load_dword v14, v[4:5], off offset:448
	;; [unrolled: 1-line block ×10, first 2 shown]
; %bb.11:
	s_or_b32 exec_lo, exec_lo, s4
	s_waitcnt vmcnt(0)
	v_pk_add_f16 v30, v15, v4 neg_lo:[0,1] neg_hi:[0,1]
	v_mov_b32_e32 v26, 0xba0c
	v_pk_add_f16 v16, v15, v4
	v_pk_add_f16 v28, v14, v6 neg_lo:[0,1] neg_hi:[0,1]
	v_mov_b32_e32 v34, 0x3beb
	v_pk_add_f16 v17, v14, v6
	v_mul_f16_sdwa v38, v30, v26 dst_sel:DWORD dst_unused:UNUSED_PAD src0_sel:WORD_1 src1_sel:DWORD
	v_pk_add_f16 v31, v13, v8 neg_lo:[0,1] neg_hi:[0,1]
	v_lshrrev_b32_e32 v25, 16, v16
	v_mul_f16_e32 v45, 0xba0c, v30
	v_mul_f16_sdwa v41, v28, v34 dst_sel:DWORD dst_unused:UNUSED_PAD src0_sel:WORD_1 src1_sel:DWORD
	v_fma_f16 v5, v16, 0xb93d, -v38
	v_mov_b32_e32 v33, 0xb853
	v_lshrrev_b32_e32 v23, 16, v17
	v_fmamk_f16 v12, v25, 0xb93d, v45
	v_fma_f16 v19, v17, 0xb08e, -v41
	v_add_f16_e32 v5, v1, v5
	v_mul_f16_e32 v44, 0x3beb, v28
	v_pk_add_f16 v18, v13, v8
	v_mul_f16_sdwa v39, v31, v33 dst_sel:DWORD dst_unused:UNUSED_PAD src0_sel:WORD_1 src1_sel:DWORD
	v_add_f16_sdwa v12, v1, v12 dst_sel:DWORD dst_unused:UNUSED_PAD src0_sel:WORD_1 src1_sel:DWORD
	v_add_f16_e32 v5, v5, v19
	v_fmamk_f16 v20, v23, 0xb08e, v44
	v_lshrrev_b32_e32 v24, 16, v18
	v_mul_f16_e32 v42, 0xb853, v31
	v_fma_f16 v21, v18, 0x3abb, -v39
	v_pk_add_f16 v32, v11, v7 neg_lo:[0,1] neg_hi:[0,1]
	v_mov_b32_e32 v27, 0xb482
	v_pk_add_f16 v19, v11, v7
	v_add_f16_e32 v12, v12, v20
	v_add_f16_e32 v5, v5, v21
	v_fmamk_f16 v22, v24, 0x3abb, v42
	v_mul_f16_sdwa v37, v32, v27 dst_sel:DWORD dst_unused:UNUSED_PAD src0_sel:WORD_1 src1_sel:DWORD
	v_lshrrev_b32_e32 v21, 16, v19
	v_mul_f16_e32 v43, 0xb482, v32
	v_pk_add_f16 v29, v10, v9 neg_lo:[0,1] neg_hi:[0,1]
	v_mov_b32_e32 v36, 0x3b47
	v_pk_add_f16 v20, v10, v9
	v_add_f16_e32 v12, v12, v22
	v_fma_f16 v46, v19, 0xbbad, -v37
	v_fmamk_f16 v47, v21, 0xbbad, v43
	v_mul_f16_sdwa v35, v29, v36 dst_sel:DWORD dst_unused:UNUSED_PAD src0_sel:WORD_1 src1_sel:DWORD
	v_lshrrev_b32_e32 v22, 16, v20
	v_mul_f16_e32 v40, 0x3b47, v29
	v_add_f16_e32 v5, v46, v5
	v_add_f16_e32 v12, v47, v12
	v_fma_f16 v46, v20, 0x36a6, -v35
	v_fmamk_f16 v47, v22, 0x36a6, v40
	v_add_f16_e32 v5, v46, v5
	v_add_f16_e32 v12, v47, v12
	s_and_saveexec_b32 s1, s0
	s_cbranch_execz .LBB0_13
; %bb.12:
	v_pk_mul_f16 v46, 0xb482, v30 op_sel_hi:[0,1]
	v_pk_mul_f16 v47, 0x3853, v28 op_sel_hi:[0,1]
	v_mul_f16_e32 v48, 0xb93d, v25
	v_mul_f16_e32 v50, 0xb08e, v23
	v_pk_mul_f16 v52, 0xba0c, v31 op_sel_hi:[0,1]
	v_pk_fma_f16 v51, 0xbbad, v16, v46 op_sel:[0,0,1] op_sel_hi:[0,1,0]
	v_pk_fma_f16 v54, 0x3abb, v17, v47 op_sel:[0,0,1] op_sel_hi:[0,1,0]
	v_sub_f16_e32 v45, v48, v45
	v_mul_f16_e32 v49, 0xb93d, v16
	v_sub_f16_e32 v44, v50, v44
	v_pk_add_f16 v48, v1, v51
	v_mul_f16_e32 v51, 0x3abb, v24
	v_pk_fma_f16 v50, 0xb93d, v18, v52 op_sel:[0,0,1] op_sel_hi:[0,1,0]
	v_add_f16_sdwa v45, v1, v45 dst_sel:DWORD dst_unused:UNUSED_PAD src0_sel:WORD_1 src1_sel:DWORD
	v_mul_f16_e32 v53, 0xb08e, v17
	v_pk_add_f16 v48, v48, v54
	v_mul_f16_e32 v55, 0xbbad, v21
	v_add_f16_e32 v38, v38, v49
	v_add_f16_e32 v44, v45, v44
	v_sub_f16_e32 v42, v51, v42
	v_pk_add_f16 v45, v48, v50
	v_pk_mul_f16 v48, 0x3b47, v32 op_sel_hi:[0,1]
	v_mul_f16_e32 v54, 0x3abb, v18
	v_add_f16_e32 v41, v41, v53
	v_add_f16_e32 v38, v1, v38
	;; [unrolled: 1-line block ×3, first 2 shown]
	v_pk_fma_f16 v44, 0x36a6, v19, v48 op_sel:[0,0,1] op_sel_hi:[0,1,0]
	v_sub_f16_e32 v43, v55, v43
	v_pk_mul_f16 v50, 0xbbeb, v29 op_sel_hi:[0,1]
	v_add_f16_e32 v38, v38, v41
	v_mul_f16_e32 v41, 0x36a6, v22
	v_add_f16_e32 v39, v39, v54
	v_pk_add_f16 v44, v44, v45
	v_pk_fma_f16 v45, 0xb08e, v20, v50 op_sel:[0,0,1] op_sel_hi:[0,1,0]
	v_add_f16_e32 v42, v43, v42
	v_mov_b32_e32 v43, 0xbbeb
	v_mul_f16_e32 v49, 0xbbad, v19
	v_sub_f16_e32 v40, v41, v40
	v_mul_f16_e32 v41, 0xbbeb, v30
	v_add_f16_e32 v38, v38, v39
	v_mul_f16_sdwa v39, v30, v43 dst_sel:DWORD dst_unused:UNUSED_PAD src0_sel:WORD_1 src1_sel:DWORD
	v_pk_add_f16 v44, v45, v44
	v_mov_b32_e32 v45, 0x3482
	v_add_f16_e32 v37, v37, v49
	v_fma_f16 v49, v25, 0xb08e, -v41
	v_mul_f16_e32 v53, 0x3482, v28
	v_fmamk_f16 v54, v16, 0xb08e, v39
	v_add_f16_e32 v40, v40, v42
	v_mul_f16_sdwa v42, v28, v45 dst_sel:DWORD dst_unused:UNUSED_PAD src0_sel:WORD_1 src1_sel:DWORD
	v_add_f16_sdwa v49, v1, v49 dst_sel:DWORD dst_unused:UNUSED_PAD src0_sel:WORD_1 src1_sel:DWORD
	v_fma_f16 v55, v23, 0xbbad, -v53
	v_add_f16_e32 v54, v1, v54
	v_mul_f16_e32 v56, 0x3b47, v31
	v_fmamk_f16 v57, v17, 0xbbad, v42
	v_mul_f16_sdwa v36, v31, v36 dst_sel:DWORD dst_unused:UNUSED_PAD src0_sel:WORD_1 src1_sel:DWORD
	v_mul_f16_e32 v51, 0x36a6, v20
	v_add_f16_e32 v37, v37, v38
	v_add_f16_e32 v38, v49, v55
	v_fma_f16 v49, v24, 0x36a6, -v56
	v_add_f16_e32 v54, v54, v57
	v_fmamk_f16 v55, v18, 0x36a6, v36
	v_mul_f16_e32 v57, 0xb853, v32
	v_add_f16_e32 v35, v35, v51
	v_add_f16_e32 v38, v38, v49
	v_mul_f16_e32 v49, 0xbb47, v30
	v_add_f16_e32 v51, v54, v55
	v_fma_f16 v54, v21, 0x3abb, -v57
	v_mul_f16_sdwa v55, v32, v33 dst_sel:DWORD dst_unused:UNUSED_PAD src0_sel:WORD_1 src1_sel:DWORD
	v_add_f16_e32 v35, v35, v37
	v_fma_f16 v37, v25, 0x36a6, -v49
	v_mul_f16_e32 v58, 0xba0c, v28
	v_add_f16_e32 v38, v54, v38
	v_fmamk_f16 v54, v19, 0x3abb, v55
	v_mul_f16_e32 v59, 0xba0c, v29
	v_add_f16_sdwa v37, v1, v37 dst_sel:DWORD dst_unused:UNUSED_PAD src0_sel:WORD_1 src1_sel:DWORD
	v_fma_f16 v60, v23, 0xb93d, -v58
	v_mul_f16_e32 v61, 0x3482, v31
	v_add_f16_e32 v51, v54, v51
	v_fma_f16 v54, v22, 0xb93d, -v59
	v_mov_b32_e32 v62, 0xbb47
	v_add_f16_e32 v37, v37, v60
	v_fma_f16 v60, v24, 0xbbad, -v61
	v_mul_f16_e32 v63, 0x3beb, v32
	v_add_f16_e32 v38, v54, v38
	v_mul_f16_sdwa v54, v30, v62 dst_sel:DWORD dst_unused:UNUSED_PAD src0_sel:WORD_1 src1_sel:DWORD
	v_mul_f16_sdwa v64, v29, v26 dst_sel:DWORD dst_unused:UNUSED_PAD src0_sel:WORD_1 src1_sel:DWORD
	v_add_f16_e32 v37, v37, v60
	v_fma_f16 v60, v21, 0xb08e, -v63
	v_mul_f16_e32 v65, 0x3853, v29
	v_fmamk_f16 v66, v16, 0x36a6, v54
	v_mul_f16_sdwa v67, v28, v26 dst_sel:DWORD dst_unused:UNUSED_PAD src0_sel:WORD_1 src1_sel:DWORD
	v_fmamk_f16 v68, v20, 0xb93d, v64
	v_add_f16_e32 v37, v60, v37
	v_fma_f16 v60, v22, 0x3abb, -v65
	v_add_f16_e32 v66, v1, v66
	v_fmamk_f16 v69, v17, 0xb93d, v67
	v_mul_f16_sdwa v45, v31, v45 dst_sel:DWORD dst_unused:UNUSED_PAD src0_sel:WORD_1 src1_sel:DWORD
	v_add_f16_e32 v51, v68, v51
	v_add_f16_e32 v37, v60, v37
	v_mul_f16_e32 v60, 0xb853, v30
	v_add_f16_e32 v66, v66, v69
	v_fmamk_f16 v68, v18, 0xbbad, v45
	v_mul_f16_sdwa v34, v32, v34 dst_sel:DWORD dst_unused:UNUSED_PAD src0_sel:WORD_1 src1_sel:DWORD
	v_mov_b32_e32 v69, 0x3853
	v_fma_f16 v70, v25, 0x3abb, -v60
	v_mul_f16_e32 v71, 0xbb47, v28
	v_add_f16_e32 v66, v66, v68
	v_fmamk_f16 v68, v19, 0xb08e, v34
	v_mul_f16_sdwa v69, v29, v69 dst_sel:DWORD dst_unused:UNUSED_PAD src0_sel:WORD_1 src1_sel:DWORD
	v_add_f16_sdwa v70, v1, v70 dst_sel:DWORD dst_unused:UNUSED_PAD src0_sel:WORD_1 src1_sel:DWORD
	v_fma_f16 v72, v23, 0x36a6, -v71
	v_mul_f16_e32 v73, 0xbbeb, v31
	v_add_f16_e32 v66, v68, v66
	v_fmamk_f16 v68, v20, 0x3abb, v69
	v_mul_f16_sdwa v30, v30, v33 dst_sel:DWORD dst_unused:UNUSED_PAD src0_sel:WORD_1 src1_sel:DWORD
	v_add_f16_e32 v33, v70, v72
	v_fma_f16 v70, v24, 0xb08e, -v73
	v_mul_f16_e32 v72, 0xba0c, v32
	v_add_f16_e32 v66, v68, v66
	v_fmamk_f16 v68, v16, 0x3abb, v30
	v_mul_f16_sdwa v28, v28, v62 dst_sel:DWORD dst_unused:UNUSED_PAD src0_sel:WORD_1 src1_sel:DWORD
	v_add_f16_e32 v33, v33, v70
	;; [unrolled: 6-line block ×3, first 2 shown]
	v_fmac_f16_e32 v41, 0xb08e, v25
	v_fma_f16 v43, v22, 0xbbad, -v70
	v_add_f16_e32 v62, v68, v74
	v_fmamk_f16 v68, v18, 0xb08e, v31
	v_mul_f16_sdwa v26, v32, v26 dst_sel:DWORD dst_unused:UNUSED_PAD src0_sel:WORD_1 src1_sel:DWORD
	v_add_f16_sdwa v32, v1, v41 dst_sel:DWORD dst_unused:UNUSED_PAD src0_sel:WORD_1 src1_sel:DWORD
	v_add_f16_e32 v33, v43, v33
	v_fma_f16 v39, v16, 0xb08e, -v39
	v_add_f16_e32 v41, v62, v68
	v_fmamk_f16 v43, v19, 0xb93d, v26
	v_mul_f16_sdwa v27, v29, v27 dst_sel:DWORD dst_unused:UNUSED_PAD src0_sel:WORD_1 src1_sel:DWORD
	v_fma_f16 v36, v18, 0x36a6, -v36
	v_add_f16_e32 v39, v1, v39
	v_pk_add_f16 v15, v1, v15
	v_add_f16_e32 v29, v43, v41
	v_fma_f16 v41, v17, 0xbbad, -v42
	v_fma_f16 v43, v17, 0xb93d, -v67
	v_fmac_f16_e32 v49, 0x36a6, v25
	v_pk_add_f16 v14, v15, v14
	v_fmac_f16_e32 v60, 0x3abb, v25
	v_add_f16_e32 v39, v39, v41
	v_fmac_f16_e32 v53, 0xbbad, v23
	v_fmac_f16_e32 v58, 0xb93d, v23
	v_pk_add_f16 v13, v14, v13
	v_fmac_f16_e32 v71, 0x36a6, v23
	v_add_f16_e32 v36, v39, v36
	v_fma_f16 v39, v19, 0x3abb, -v55
	v_add_f16_sdwa v41, v1, v49 dst_sel:DWORD dst_unused:UNUSED_PAD src0_sel:WORD_1 src1_sel:DWORD
	v_pk_add_f16 v11, v13, v11
	v_fma_f16 v13, v19, 0xb08e, -v34
	v_add_f16_sdwa v14, v1, v60 dst_sel:DWORD dst_unused:UNUSED_PAD src0_sel:WORD_1 src1_sel:DWORD
	v_add_f16_e32 v36, v39, v36
	v_fma_f16 v39, v16, 0x36a6, -v54
	v_pk_add_f16 v10, v11, v10
	v_add_f16_e32 v32, v32, v53
	v_fmac_f16_e32 v56, 0x36a6, v24
	v_add_f16_e32 v41, v41, v58
	v_add_f16_e32 v39, v1, v39
	v_pk_add_f16 v9, v10, v9
	v_pk_fma_f16 v10, 0xbbad, v16, v46 op_sel:[0,0,1] op_sel_hi:[0,1,0] neg_lo:[0,0,1] neg_hi:[0,0,1]
	v_fmac_f16_e32 v61, 0xbbad, v24
	v_add_f16_e32 v14, v14, v71
	v_add_f16_e32 v25, v39, v43
	v_fma_f16 v39, v18, 0xbbad, -v45
	v_pk_add_f16 v7, v9, v7
	v_pk_fma_f16 v9, 0x3abb, v17, v47 op_sel:[0,0,1] op_sel_hi:[0,1,0] neg_lo:[0,0,1] neg_hi:[0,0,1]
	v_fmac_f16_e32 v73, 0xb08e, v24
	v_add_f16_e32 v32, v32, v56
	v_add_f16_e32 v23, v25, v39
	v_pk_add_f16 v7, v7, v8
	v_pk_fma_f16 v8, 0xb93d, v18, v52 op_sel:[0,0,1] op_sel_hi:[0,1,0] neg_lo:[0,0,1] neg_hi:[0,0,1]
	v_fmac_f16_e32 v57, 0x3abb, v21
	v_fmamk_f16 v42, v20, 0xbbad, v27
	v_add_f16_e32 v11, v13, v23
	v_fma_f16 v13, v16, 0x3abb, -v30
	v_fma_f16 v16, v17, 0x36a6, -v28
	v_pk_add_f16 v6, v6, v7
	v_pk_fma_f16 v7, 0x36a6, v19, v48 op_sel:[0,0,1] op_sel_hi:[0,1,0] neg_lo:[0,0,1] neg_hi:[0,0,1]
	v_add_f16_e32 v41, v41, v61
	v_add_f16_e32 v13, v1, v13
	v_pk_add_f16 v1, v1, v10
	v_fmac_f16_e32 v63, 0xb08e, v21
	v_add_f16_e32 v14, v14, v73
	v_fmac_f16_e32 v72, 0xb93d, v21
	v_add_f16_e32 v10, v13, v16
	v_pk_add_f16 v1, v1, v9
	v_fma_f16 v13, v18, 0xb08e, -v31
	v_add_f16_e32 v32, v57, v32
	v_fmac_f16_e32 v59, 0xb93d, v22
	v_add_f16_e32 v29, v42, v29
	v_pk_add_f16 v1, v1, v8
	v_add_f16_e32 v9, v10, v13
	v_fma_f16 v10, v19, 0xb93d, -v26
	v_fma_f16 v42, v20, 0xb93d, -v64
	v_add_f16_e32 v15, v63, v41
	v_pk_add_f16 v1, v7, v1
	v_pk_fma_f16 v7, 0xb08e, v20, v50 op_sel:[0,0,1] op_sel_hi:[0,1,0] neg_lo:[0,0,1] neg_hi:[0,0,1]
	v_fmac_f16_e32 v65, 0x3abb, v22
	v_fma_f16 v23, v20, 0x3abb, -v69
	v_add_f16_e32 v14, v72, v14
	v_fmac_f16_e32 v70, 0xbbad, v22
	v_add_f16_e32 v8, v10, v9
	v_fma_f16 v9, v20, 0xbbad, -v27
	v_pk_add_f16 v4, v4, v6
	v_mad_u32_u24 v6, v0, 44, 0
	v_pk_add_f16 v1, v7, v1
	v_add_f16_e32 v32, v59, v32
	v_add_f16_e32 v36, v42, v36
	;; [unrolled: 1-line block ×6, first 2 shown]
	ds_write_b32 v6, v4
	v_pack_b32_f16 v4, v66, v37
	v_pack_b32_f16 v7, v29, v33
	;; [unrolled: 1-line block ×4, first 2 shown]
	v_bfi_b32 v14, 0xffff, v1, v44
	v_bfi_b32 v1, 0xffff, v44, v1
	v_pack_b32_f16 v16, v36, v32
	v_perm_b32 v17, v12, v5, 0x5040100
	v_pack_b32_f16 v8, v8, v11
	v_pack_b32_f16 v10, v10, v15
	ds_write2_b32 v6, v7, v4 offset0:1 offset1:2
	ds_write2_b32 v6, v13, v9 offset0:3 offset1:4
	;; [unrolled: 1-line block ×5, first 2 shown]
.LBB0_13:
	s_or_b32 exec_lo, exec_lo, s1
	v_and_b32_e32 v1, 0xff, v0
	v_mov_b32_e32 v6, 6
	s_waitcnt lgkmcnt(0)
	s_barrier
	buffer_gl0_inv
	v_mul_lo_u16 v1, 0x75, v1
	v_mov_b32_e32 v22, 0x134
	v_mov_b32_e32 v23, 2
	v_cmp_gt_u32_e64 s0, 0x4d, v0
	v_lshrrev_b16 v1, 8, v1
	v_sub_nc_u16 v4, v0, v1
	v_lshrrev_b16 v4, 1, v4
	v_and_b32_e32 v4, 0x7f, v4
	v_add_nc_u16 v1, v4, v1
	v_lshrrev_b16 v4, 3, v1
	v_mul_lo_u16 v1, v4, 11
	v_mul_u32_u24_sdwa v4, v4, v22 dst_sel:DWORD dst_unused:UNUSED_PAD src0_sel:WORD_0 src1_sel:DWORD
	v_sub_nc_u16 v13, v0, v1
	v_mul_u32_u24_sdwa v1, v13, v6 dst_sel:DWORD dst_unused:UNUSED_PAD src0_sel:BYTE_0 src1_sel:DWORD
	v_lshlrev_b32_sdwa v13, v23, v13 dst_sel:DWORD dst_unused:UNUSED_PAD src0_sel:DWORD src1_sel:BYTE_0
	v_lshlrev_b32_e32 v1, 2, v1
	v_add3_u32 v28, 0, v4, v13
	s_clause 0x1
	global_load_dwordx4 v[6:9], v1, s[8:9]
	global_load_dwordx2 v[10:11], v1, s[8:9] offset:16
	v_lshl_add_u32 v1, v0, 2, 0
	v_add_nc_u32_e32 v17, 0x200, v1
	v_add_nc_u32_e32 v14, 0x400, v1
	ds_read2_b32 v[15:16], v1 offset1:88
	ds_read_b32 v21, v1 offset:2112
	ds_read2_b32 v[17:18], v17 offset0:48 offset1:136
	ds_read2_b32 v[19:20], v14 offset0:96 offset1:184
	s_waitcnt vmcnt(0) lgkmcnt(0)
	s_barrier
	buffer_gl0_inv
	v_lshrrev_b32_e32 v24, 16, v16
	v_lshrrev_b32_e32 v25, 16, v21
	;; [unrolled: 1-line block ×6, first 2 shown]
	v_mul_f16_sdwa v4, v6, v24 dst_sel:DWORD dst_unused:UNUSED_PAD src0_sel:WORD_1 src1_sel:DWORD
	v_mul_f16_sdwa v13, v6, v16 dst_sel:DWORD dst_unused:UNUSED_PAD src0_sel:WORD_1 src1_sel:DWORD
	;; [unrolled: 1-line block ×12, first 2 shown]
	v_fmac_f16_e32 v4, v6, v16
	v_fma_f16 v6, v6, v24, -v13
	v_fmac_f16_e32 v29, v7, v17
	v_fma_f16 v7, v7, v22, -v30
	;; [unrolled: 2-line block ×6, first 2 shown]
	v_add_f16_e32 v13, v4, v37
	v_add_f16_e32 v16, v6, v11
	v_sub_f16_e32 v6, v6, v11
	v_add_f16_e32 v11, v29, v35
	v_add_f16_e32 v17, v7, v10
	v_sub_f16_e32 v4, v4, v37
	v_sub_f16_e32 v18, v29, v35
	;; [unrolled: 1-line block ×3, first 2 shown]
	v_add_f16_e32 v10, v31, v33
	v_add_f16_e32 v19, v8, v9
	v_sub_f16_e32 v20, v33, v31
	v_sub_f16_e32 v8, v9, v8
	v_add_f16_e32 v9, v11, v13
	v_add_f16_e32 v21, v17, v16
	v_sub_f16_e32 v22, v11, v13
	v_sub_f16_e32 v23, v17, v16
	;; [unrolled: 1-line block ×6, first 2 shown]
	v_add_f16_e32 v24, v20, v18
	v_add_f16_e32 v25, v8, v7
	v_sub_f16_e32 v26, v20, v18
	v_sub_f16_e32 v27, v8, v7
	;; [unrolled: 1-line block ×4, first 2 shown]
	v_add_f16_e32 v9, v10, v9
	v_add_f16_e32 v10, v19, v21
	v_sub_f16_e32 v20, v4, v20
	v_sub_f16_e32 v8, v6, v8
	v_add_f16_e32 v4, v24, v4
	v_add_f16_e32 v19, v25, v6
	v_mul_f16_e32 v21, 0x3a52, v13
	v_mul_f16_e32 v16, 0x3a52, v16
	;; [unrolled: 1-line block ×8, first 2 shown]
	v_add_f16_e32 v6, v9, v15
	v_add_f16_sdwa v13, v10, v15 dst_sel:DWORD dst_unused:UNUSED_PAD src0_sel:DWORD src1_sel:WORD_1
	v_fmamk_f16 v11, v11, 0x2b26, v21
	v_fmamk_f16 v15, v17, 0x2b26, v16
	v_fma_f16 v17, v22, 0x39e0, -v24
	v_fma_f16 v24, v23, 0x39e0, -v25
	;; [unrolled: 1-line block ×4, first 2 shown]
	v_fmamk_f16 v22, v20, 0xb574, v26
	v_fmamk_f16 v23, v8, 0xb574, v27
	v_fma_f16 v25, v18, 0xbb00, -v26
	v_fma_f16 v26, v7, 0xbb00, -v27
	;; [unrolled: 1-line block ×4, first 2 shown]
	v_fmamk_f16 v7, v9, 0xbcab, v6
	v_fmamk_f16 v8, v10, 0xbcab, v13
	v_fmac_f16_e32 v22, 0xb70e, v4
	v_fmac_f16_e32 v23, 0xb70e, v19
	;; [unrolled: 1-line block ×4, first 2 shown]
	v_add_f16_e32 v4, v11, v7
	v_add_f16_e32 v30, v15, v8
	v_fmac_f16_e32 v26, 0xb70e, v19
	v_fmac_f16_e32 v27, 0xb70e, v19
	v_add_f16_e32 v10, v17, v7
	v_add_f16_e32 v11, v21, v7
	;; [unrolled: 1-line block ×5, first 2 shown]
	v_sub_f16_e32 v15, v30, v22
	v_add_f16_e32 v8, v27, v11
	v_sub_f16_e32 v18, v19, v20
	v_sub_f16_e32 v9, v10, v26
	v_add_f16_e32 v16, v25, v17
	v_add_f16_e32 v10, v26, v10
	v_sub_f16_e32 v17, v17, v25
	v_sub_f16_e32 v11, v11, v27
	v_add_f16_e32 v19, v20, v19
	v_sub_f16_e32 v4, v4, v23
	v_add_f16_e32 v20, v22, v30
	v_pack_b32_f16 v29, v6, v13
	v_pack_b32_f16 v21, v7, v15
	;; [unrolled: 1-line block ×7, first 2 shown]
	ds_write2_b32 v28, v29, v21 offset1:11
	ds_write2_b32 v28, v22, v23 offset0:22 offset1:33
	ds_write2_b32 v28, v24, v25 offset0:44 offset1:55
	ds_write_b32 v28, v26 offset:264
	s_waitcnt lgkmcnt(0)
	s_barrier
	buffer_gl0_inv
	s_and_saveexec_b32 s1, s0
	s_cbranch_execnz .LBB0_16
; %bb.14:
	s_or_b32 exec_lo, exec_lo, s1
	s_and_b32 s0, vcc_lo, s0
	s_and_saveexec_b32 s1, s0
	s_cbranch_execnz .LBB0_17
.LBB0_15:
	s_endpgm
.LBB0_16:
	v_add_nc_u32_e32 v4, 0x600, v1
	ds_read2_b32 v[6:7], v1 offset1:77
	ds_read2_b32 v[8:9], v1 offset0:154 offset1:231
	ds_read2_b32 v[10:11], v14 offset0:52 offset1:129
	;; [unrolled: 1-line block ×3, first 2 shown]
	s_waitcnt lgkmcnt(3)
	v_lshrrev_b32_e32 v13, 16, v6
	v_lshrrev_b32_e32 v15, 16, v7
	s_waitcnt lgkmcnt(2)
	v_lshrrev_b32_e32 v18, 16, v8
	v_lshrrev_b32_e32 v16, 16, v9
	;; [unrolled: 3-line block ×4, first 2 shown]
	s_or_b32 exec_lo, exec_lo, s1
	s_and_b32 s0, vcc_lo, s0
	s_and_saveexec_b32 s1, s0
	s_cbranch_execz .LBB0_15
.LBB0_17:
	v_mul_u32_u24_e32 v1, 7, v0
	v_add_co_u32 v2, vcc_lo, s2, v2
	v_add_co_ci_u32_e32 v3, vcc_lo, s3, v3, vcc_lo
	v_lshlrev_b32_e32 v1, 2, v1
	s_clause 0x1
	global_load_dwordx4 v[21:24], v1, s[8:9] offset:264
	global_load_dwordx3 v[25:27], v1, s[8:9] offset:280
	v_mov_b32_e32 v1, 0
	v_lshlrev_b64 v[0:1], 2, v[0:1]
	v_add_co_u32 v0, vcc_lo, v2, v0
	v_add_co_ci_u32_e32 v1, vcc_lo, v3, v1, vcc_lo
	s_waitcnt vmcnt(1)
	v_mul_f16_sdwa v2, v17, v24 dst_sel:DWORD dst_unused:UNUSED_PAD src0_sel:DWORD src1_sel:WORD_1
	v_mul_f16_sdwa v3, v8, v22 dst_sel:DWORD dst_unused:UNUSED_PAD src0_sel:DWORD src1_sel:WORD_1
	s_waitcnt vmcnt(0)
	v_mul_f16_sdwa v14, v4, v26 dst_sel:DWORD dst_unused:UNUSED_PAD src0_sel:DWORD src1_sel:WORD_1
	v_mul_f16_sdwa v28, v7, v21 dst_sel:DWORD dst_unused:UNUSED_PAD src0_sel:DWORD src1_sel:WORD_1
	;; [unrolled: 1-line block ×12, first 2 shown]
	v_fmac_f16_e32 v2, v10, v24
	v_fma_f16 v10, v18, v22, -v3
	v_fma_f16 v3, v20, v26, -v14
	;; [unrolled: 1-line block ×4, first 2 shown]
	v_fmac_f16_e32 v30, v9, v23
	v_fmac_f16_e32 v31, v5, v27
	;; [unrolled: 1-line block ×4, first 2 shown]
	v_fma_f16 v5, v16, v23, -v34
	v_fma_f16 v7, v12, v27, -v35
	;; [unrolled: 1-line block ×3, first 2 shown]
	v_fmac_f16_e32 v37, v8, v22
	v_fmac_f16_e32 v38, v4, v26
	v_sub_f16_e32 v4, v6, v2
	v_sub_f16_e32 v8, v10, v3
	;; [unrolled: 1-line block ×8, first 2 shown]
	v_add_f16_e32 v17, v4, v8
	v_sub_f16_e32 v18, v11, v12
	v_add_f16_e32 v19, v15, v7
	v_fma_f16 v6, v6, 2.0, -v4
	v_sub_f16_e32 v20, v9, v16
	v_fma_f16 v16, v37, 2.0, -v16
	v_fma_f16 v14, v14, 2.0, -v11
	;; [unrolled: 1-line block ×7, first 2 shown]
	v_fmamk_f16 v13, v19, 0x39a8, v17
	v_sub_f16_e32 v16, v6, v16
	v_sub_f16_e32 v5, v14, v5
	;; [unrolled: 1-line block ×4, first 2 shown]
	v_fmamk_f16 v21, v18, 0x39a8, v20
	v_fma_f16 v4, v4, 2.0, -v17
	v_fma_f16 v11, v11, 2.0, -v18
	;; [unrolled: 1-line block ×4, first 2 shown]
	v_fmac_f16_e32 v13, 0x39a8, v18
	v_add_f16_e32 v18, v16, v5
	v_fma_f16 v6, v6, 2.0, -v16
	v_fma_f16 v10, v10, 2.0, -v12
	;; [unrolled: 1-line block ×4, first 2 shown]
	v_fmac_f16_e32 v21, 0xb9a8, v19
	v_sub_f16_e32 v19, v8, v12
	v_fmamk_f16 v22, v15, 0xb9a8, v4
	v_fmamk_f16 v23, v11, 0xb9a8, v9
	v_sub_f16_e32 v10, v6, v10
	v_sub_f16_e32 v5, v7, v5
	v_fma_f16 v8, v8, 2.0, -v19
	v_fmac_f16_e32 v22, 0x39a8, v11
	v_fmac_f16_e32 v23, 0xb9a8, v15
	v_fma_f16 v11, v16, 2.0, -v18
	v_fma_f16 v12, v17, 2.0, -v13
	;; [unrolled: 1-line block ×5, first 2 shown]
	v_pack_b32_f16 v15, v18, v19
	v_fma_f16 v4, v4, 2.0, -v22
	v_fma_f16 v9, v9, 2.0, -v23
	v_pack_b32_f16 v8, v11, v8
	v_pack_b32_f16 v11, v12, v14
	;; [unrolled: 1-line block ×3, first 2 shown]
	v_add_co_u32 v2, vcc_lo, 0x800, v0
	v_pack_b32_f16 v10, v22, v23
	v_pack_b32_f16 v6, v6, v7
	v_add_co_ci_u32_e32 v3, vcc_lo, 0, v1, vcc_lo
	v_pack_b32_f16 v13, v13, v21
	global_store_dword v[0:1], v15, off offset:1848
	v_pack_b32_f16 v4, v4, v9
	global_store_dword v[0:1], v8, off offset:616
	global_store_dword v[0:1], v11, off offset:924
	;; [unrolled: 1-line block ×4, first 2 shown]
	global_store_dword v[0:1], v6, off
	global_store_dword v[0:1], v4, off offset:308
	global_store_dword v[2:3], v13, off offset:108
	s_endpgm
	.section	.rodata,"a",@progbits
	.p2align	6, 0x0
	.amdhsa_kernel fft_rtc_back_len616_factors_11_7_8_wgs_88_tpt_88_half_ip_CI_unitstride_sbrr_dirReg
		.amdhsa_group_segment_fixed_size 0
		.amdhsa_private_segment_fixed_size 0
		.amdhsa_kernarg_size 88
		.amdhsa_user_sgpr_count 6
		.amdhsa_user_sgpr_private_segment_buffer 1
		.amdhsa_user_sgpr_dispatch_ptr 0
		.amdhsa_user_sgpr_queue_ptr 0
		.amdhsa_user_sgpr_kernarg_segment_ptr 1
		.amdhsa_user_sgpr_dispatch_id 0
		.amdhsa_user_sgpr_flat_scratch_init 0
		.amdhsa_user_sgpr_private_segment_size 0
		.amdhsa_wavefront_size32 1
		.amdhsa_uses_dynamic_stack 0
		.amdhsa_system_sgpr_private_segment_wavefront_offset 0
		.amdhsa_system_sgpr_workgroup_id_x 1
		.amdhsa_system_sgpr_workgroup_id_y 0
		.amdhsa_system_sgpr_workgroup_id_z 0
		.amdhsa_system_sgpr_workgroup_info 0
		.amdhsa_system_vgpr_workitem_id 0
		.amdhsa_next_free_vgpr 75
		.amdhsa_next_free_sgpr 21
		.amdhsa_reserve_vcc 1
		.amdhsa_reserve_flat_scratch 0
		.amdhsa_float_round_mode_32 0
		.amdhsa_float_round_mode_16_64 0
		.amdhsa_float_denorm_mode_32 3
		.amdhsa_float_denorm_mode_16_64 3
		.amdhsa_dx10_clamp 1
		.amdhsa_ieee_mode 1
		.amdhsa_fp16_overflow 0
		.amdhsa_workgroup_processor_mode 1
		.amdhsa_memory_ordered 1
		.amdhsa_forward_progress 0
		.amdhsa_shared_vgpr_count 0
		.amdhsa_exception_fp_ieee_invalid_op 0
		.amdhsa_exception_fp_denorm_src 0
		.amdhsa_exception_fp_ieee_div_zero 0
		.amdhsa_exception_fp_ieee_overflow 0
		.amdhsa_exception_fp_ieee_underflow 0
		.amdhsa_exception_fp_ieee_inexact 0
		.amdhsa_exception_int_div_zero 0
	.end_amdhsa_kernel
	.text
.Lfunc_end0:
	.size	fft_rtc_back_len616_factors_11_7_8_wgs_88_tpt_88_half_ip_CI_unitstride_sbrr_dirReg, .Lfunc_end0-fft_rtc_back_len616_factors_11_7_8_wgs_88_tpt_88_half_ip_CI_unitstride_sbrr_dirReg
                                        ; -- End function
	.section	.AMDGPU.csdata,"",@progbits
; Kernel info:
; codeLenInByte = 5392
; NumSgprs: 23
; NumVgprs: 75
; ScratchSize: 0
; MemoryBound: 0
; FloatMode: 240
; IeeeMode: 1
; LDSByteSize: 0 bytes/workgroup (compile time only)
; SGPRBlocks: 2
; VGPRBlocks: 9
; NumSGPRsForWavesPerEU: 23
; NumVGPRsForWavesPerEU: 75
; Occupancy: 12
; WaveLimiterHint : 1
; COMPUTE_PGM_RSRC2:SCRATCH_EN: 0
; COMPUTE_PGM_RSRC2:USER_SGPR: 6
; COMPUTE_PGM_RSRC2:TRAP_HANDLER: 0
; COMPUTE_PGM_RSRC2:TGID_X_EN: 1
; COMPUTE_PGM_RSRC2:TGID_Y_EN: 0
; COMPUTE_PGM_RSRC2:TGID_Z_EN: 0
; COMPUTE_PGM_RSRC2:TIDIG_COMP_CNT: 0
	.text
	.p2alignl 6, 3214868480
	.fill 48, 4, 3214868480
	.type	__hip_cuid_68511c23f5cc3ee8,@object ; @__hip_cuid_68511c23f5cc3ee8
	.section	.bss,"aw",@nobits
	.globl	__hip_cuid_68511c23f5cc3ee8
__hip_cuid_68511c23f5cc3ee8:
	.byte	0                               ; 0x0
	.size	__hip_cuid_68511c23f5cc3ee8, 1

	.ident	"AMD clang version 19.0.0git (https://github.com/RadeonOpenCompute/llvm-project roc-6.4.0 25133 c7fe45cf4b819c5991fe208aaa96edf142730f1d)"
	.section	".note.GNU-stack","",@progbits
	.addrsig
	.addrsig_sym __hip_cuid_68511c23f5cc3ee8
	.amdgpu_metadata
---
amdhsa.kernels:
  - .args:
      - .actual_access:  read_only
        .address_space:  global
        .offset:         0
        .size:           8
        .value_kind:     global_buffer
      - .offset:         8
        .size:           8
        .value_kind:     by_value
      - .actual_access:  read_only
        .address_space:  global
        .offset:         16
        .size:           8
        .value_kind:     global_buffer
      - .actual_access:  read_only
        .address_space:  global
        .offset:         24
        .size:           8
        .value_kind:     global_buffer
      - .offset:         32
        .size:           8
        .value_kind:     by_value
      - .actual_access:  read_only
        .address_space:  global
        .offset:         40
        .size:           8
        .value_kind:     global_buffer
      - .actual_access:  read_only
        .address_space:  global
        .offset:         48
        .size:           8
        .value_kind:     global_buffer
      - .offset:         56
        .size:           4
        .value_kind:     by_value
      - .actual_access:  read_only
        .address_space:  global
        .offset:         64
        .size:           8
        .value_kind:     global_buffer
      - .actual_access:  read_only
        .address_space:  global
        .offset:         72
        .size:           8
        .value_kind:     global_buffer
      - .address_space:  global
        .offset:         80
        .size:           8
        .value_kind:     global_buffer
    .group_segment_fixed_size: 0
    .kernarg_segment_align: 8
    .kernarg_segment_size: 88
    .language:       OpenCL C
    .language_version:
      - 2
      - 0
    .max_flat_workgroup_size: 88
    .name:           fft_rtc_back_len616_factors_11_7_8_wgs_88_tpt_88_half_ip_CI_unitstride_sbrr_dirReg
    .private_segment_fixed_size: 0
    .sgpr_count:     23
    .sgpr_spill_count: 0
    .symbol:         fft_rtc_back_len616_factors_11_7_8_wgs_88_tpt_88_half_ip_CI_unitstride_sbrr_dirReg.kd
    .uniform_work_group_size: 1
    .uses_dynamic_stack: false
    .vgpr_count:     75
    .vgpr_spill_count: 0
    .wavefront_size: 32
    .workgroup_processor_mode: 1
amdhsa.target:   amdgcn-amd-amdhsa--gfx1030
amdhsa.version:
  - 1
  - 2
...

	.end_amdgpu_metadata
